;; amdgpu-corpus repo=ROCm/rocFFT kind=compiled arch=gfx1201 opt=O3
	.text
	.amdgcn_target "amdgcn-amd-amdhsa--gfx1201"
	.amdhsa_code_object_version 6
	.protected	fft_rtc_back_len96_factors_6_16_wgs_128_tpt_16_half_op_CI_CI_unitstride_sbrr_C2R_dirReg ; -- Begin function fft_rtc_back_len96_factors_6_16_wgs_128_tpt_16_half_op_CI_CI_unitstride_sbrr_C2R_dirReg
	.globl	fft_rtc_back_len96_factors_6_16_wgs_128_tpt_16_half_op_CI_CI_unitstride_sbrr_C2R_dirReg
	.p2align	8
	.type	fft_rtc_back_len96_factors_6_16_wgs_128_tpt_16_half_op_CI_CI_unitstride_sbrr_C2R_dirReg,@function
fft_rtc_back_len96_factors_6_16_wgs_128_tpt_16_half_op_CI_CI_unitstride_sbrr_C2R_dirReg: ; @fft_rtc_back_len96_factors_6_16_wgs_128_tpt_16_half_op_CI_CI_unitstride_sbrr_C2R_dirReg
; %bb.0:
	s_clause 0x2
	s_load_b128 s[8:11], s[0:1], 0x0
	s_load_b128 s[4:7], s[0:1], 0x58
	;; [unrolled: 1-line block ×3, first 2 shown]
	v_lshrrev_b32_e32 v12, 4, v0
	v_mov_b32_e32 v8, 0
	v_mov_b32_e32 v6, 0
	;; [unrolled: 1-line block ×3, first 2 shown]
	s_delay_alu instid0(VALU_DEP_4) | instskip(NEXT) | instid1(VALU_DEP_4)
	v_lshl_or_b32 v10, ttmp9, 3, v12
	v_mov_b32_e32 v11, v8
	s_wait_kmcnt 0x0
	v_cmp_lt_u64_e64 s2, s[10:11], 2
	s_delay_alu instid0(VALU_DEP_1)
	s_and_b32 vcc_lo, exec_lo, s2
	s_cbranch_vccnz .LBB0_8
; %bb.1:
	s_load_b64 s[2:3], s[0:1], 0x10
	v_mov_b32_e32 v6, 0
	v_mov_b32_e32 v7, 0
	s_delay_alu instid0(VALU_DEP_2)
	v_mov_b32_e32 v1, v6
	s_add_nc_u64 s[16:17], s[14:15], 8
	s_add_nc_u64 s[18:19], s[12:13], 8
	s_mov_b64 s[20:21], 1
	v_mov_b32_e32 v2, v7
	s_wait_kmcnt 0x0
	s_add_nc_u64 s[22:23], s[2:3], 8
	s_mov_b32 s3, 0
.LBB0_2:                                ; =>This Inner Loop Header: Depth=1
	s_load_b64 s[24:25], s[22:23], 0x0
                                        ; implicit-def: $vgpr3_vgpr4
	s_mov_b32 s2, exec_lo
	s_wait_kmcnt 0x0
	v_or_b32_e32 v9, s25, v11
	s_delay_alu instid0(VALU_DEP_1)
	v_cmpx_ne_u64_e32 0, v[8:9]
	s_wait_alu 0xfffe
	s_xor_b32 s26, exec_lo, s2
	s_cbranch_execz .LBB0_4
; %bb.3:                                ;   in Loop: Header=BB0_2 Depth=1
	s_cvt_f32_u32 s2, s24
	s_cvt_f32_u32 s27, s25
	s_sub_nc_u64 s[30:31], 0, s[24:25]
	s_wait_alu 0xfffe
	s_delay_alu instid0(SALU_CYCLE_1) | instskip(SKIP_1) | instid1(SALU_CYCLE_2)
	s_fmamk_f32 s2, s27, 0x4f800000, s2
	s_wait_alu 0xfffe
	v_s_rcp_f32 s2, s2
	s_delay_alu instid0(TRANS32_DEP_1) | instskip(SKIP_1) | instid1(SALU_CYCLE_2)
	s_mul_f32 s2, s2, 0x5f7ffffc
	s_wait_alu 0xfffe
	s_mul_f32 s27, s2, 0x2f800000
	s_wait_alu 0xfffe
	s_delay_alu instid0(SALU_CYCLE_2) | instskip(SKIP_1) | instid1(SALU_CYCLE_2)
	s_trunc_f32 s27, s27
	s_wait_alu 0xfffe
	s_fmamk_f32 s2, s27, 0xcf800000, s2
	s_cvt_u32_f32 s29, s27
	s_wait_alu 0xfffe
	s_delay_alu instid0(SALU_CYCLE_1) | instskip(SKIP_1) | instid1(SALU_CYCLE_2)
	s_cvt_u32_f32 s28, s2
	s_wait_alu 0xfffe
	s_mul_u64 s[34:35], s[30:31], s[28:29]
	s_wait_alu 0xfffe
	s_mul_hi_u32 s37, s28, s35
	s_mul_i32 s36, s28, s35
	s_mul_hi_u32 s2, s28, s34
	s_mul_i32 s33, s29, s34
	s_wait_alu 0xfffe
	s_add_nc_u64 s[36:37], s[2:3], s[36:37]
	s_mul_hi_u32 s27, s29, s34
	s_mul_hi_u32 s38, s29, s35
	s_add_co_u32 s2, s36, s33
	s_wait_alu 0xfffe
	s_add_co_ci_u32 s2, s37, s27
	s_mul_i32 s34, s29, s35
	s_add_co_ci_u32 s35, s38, 0
	s_wait_alu 0xfffe
	s_add_nc_u64 s[34:35], s[2:3], s[34:35]
	s_wait_alu 0xfffe
	v_add_co_u32 v3, s2, s28, s34
	s_delay_alu instid0(VALU_DEP_1) | instskip(SKIP_1) | instid1(VALU_DEP_1)
	s_cmp_lg_u32 s2, 0
	s_add_co_ci_u32 s29, s29, s35
	v_readfirstlane_b32 s28, v3
	s_wait_alu 0xfffe
	s_delay_alu instid0(VALU_DEP_1)
	s_mul_u64 s[30:31], s[30:31], s[28:29]
	s_wait_alu 0xfffe
	s_mul_hi_u32 s35, s28, s31
	s_mul_i32 s34, s28, s31
	s_mul_hi_u32 s2, s28, s30
	s_mul_i32 s33, s29, s30
	s_wait_alu 0xfffe
	s_add_nc_u64 s[34:35], s[2:3], s[34:35]
	s_mul_hi_u32 s27, s29, s30
	s_mul_hi_u32 s28, s29, s31
	s_wait_alu 0xfffe
	s_add_co_u32 s2, s34, s33
	s_add_co_ci_u32 s2, s35, s27
	s_mul_i32 s30, s29, s31
	s_add_co_ci_u32 s31, s28, 0
	s_wait_alu 0xfffe
	s_add_nc_u64 s[30:31], s[2:3], s[30:31]
	s_wait_alu 0xfffe
	v_add_co_u32 v5, s2, v3, s30
	s_delay_alu instid0(VALU_DEP_1) | instskip(SKIP_1) | instid1(VALU_DEP_1)
	s_cmp_lg_u32 s2, 0
	s_add_co_ci_u32 s2, s29, s31
	v_mul_hi_u32 v9, v10, v5
	s_wait_alu 0xfffe
	v_mad_co_u64_u32 v[3:4], null, v10, s2, 0
	v_mad_co_u64_u32 v[13:14], null, v11, v5, 0
	;; [unrolled: 1-line block ×3, first 2 shown]
	s_delay_alu instid0(VALU_DEP_3) | instskip(SKIP_1) | instid1(VALU_DEP_4)
	v_add_co_u32 v3, vcc_lo, v9, v3
	s_wait_alu 0xfffd
	v_add_co_ci_u32_e32 v4, vcc_lo, 0, v4, vcc_lo
	s_delay_alu instid0(VALU_DEP_2) | instskip(SKIP_1) | instid1(VALU_DEP_2)
	v_add_co_u32 v3, vcc_lo, v3, v13
	s_wait_alu 0xfffd
	v_add_co_ci_u32_e32 v3, vcc_lo, v4, v14, vcc_lo
	s_wait_alu 0xfffd
	v_add_co_ci_u32_e32 v4, vcc_lo, 0, v16, vcc_lo
	s_delay_alu instid0(VALU_DEP_2) | instskip(SKIP_1) | instid1(VALU_DEP_2)
	v_add_co_u32 v5, vcc_lo, v3, v15
	s_wait_alu 0xfffd
	v_add_co_ci_u32_e32 v9, vcc_lo, 0, v4, vcc_lo
	s_delay_alu instid0(VALU_DEP_2) | instskip(SKIP_1) | instid1(VALU_DEP_3)
	v_mul_lo_u32 v13, s25, v5
	v_mad_co_u64_u32 v[3:4], null, s24, v5, 0
	v_mul_lo_u32 v14, s24, v9
	s_delay_alu instid0(VALU_DEP_2) | instskip(NEXT) | instid1(VALU_DEP_2)
	v_sub_co_u32 v3, vcc_lo, v10, v3
	v_add3_u32 v4, v4, v14, v13
	s_delay_alu instid0(VALU_DEP_1) | instskip(SKIP_1) | instid1(VALU_DEP_1)
	v_sub_nc_u32_e32 v13, v11, v4
	s_wait_alu 0xfffd
	v_subrev_co_ci_u32_e64 v13, s2, s25, v13, vcc_lo
	v_add_co_u32 v14, s2, v5, 2
	s_wait_alu 0xf1ff
	v_add_co_ci_u32_e64 v15, s2, 0, v9, s2
	v_sub_co_u32 v16, s2, v3, s24
	v_sub_co_ci_u32_e32 v4, vcc_lo, v11, v4, vcc_lo
	s_wait_alu 0xf1ff
	v_subrev_co_ci_u32_e64 v13, s2, 0, v13, s2
	s_delay_alu instid0(VALU_DEP_3) | instskip(NEXT) | instid1(VALU_DEP_3)
	v_cmp_le_u32_e32 vcc_lo, s24, v16
	v_cmp_eq_u32_e64 s2, s25, v4
	s_wait_alu 0xfffd
	v_cndmask_b32_e64 v16, 0, -1, vcc_lo
	v_cmp_le_u32_e32 vcc_lo, s25, v13
	s_wait_alu 0xfffd
	v_cndmask_b32_e64 v17, 0, -1, vcc_lo
	v_cmp_le_u32_e32 vcc_lo, s24, v3
	;; [unrolled: 3-line block ×3, first 2 shown]
	s_wait_alu 0xfffd
	v_cndmask_b32_e64 v18, 0, -1, vcc_lo
	v_cmp_eq_u32_e32 vcc_lo, s25, v13
	s_wait_alu 0xf1ff
	s_delay_alu instid0(VALU_DEP_2)
	v_cndmask_b32_e64 v3, v18, v3, s2
	s_wait_alu 0xfffd
	v_cndmask_b32_e32 v13, v17, v16, vcc_lo
	v_add_co_u32 v16, vcc_lo, v5, 1
	s_wait_alu 0xfffd
	v_add_co_ci_u32_e32 v17, vcc_lo, 0, v9, vcc_lo
	s_delay_alu instid0(VALU_DEP_3) | instskip(SKIP_1) | instid1(VALU_DEP_2)
	v_cmp_ne_u32_e32 vcc_lo, 0, v13
	s_wait_alu 0xfffd
	v_dual_cndmask_b32 v4, v17, v15 :: v_dual_cndmask_b32 v13, v16, v14
	v_cmp_ne_u32_e32 vcc_lo, 0, v3
	s_wait_alu 0xfffd
	s_delay_alu instid0(VALU_DEP_2) | instskip(NEXT) | instid1(VALU_DEP_3)
	v_cndmask_b32_e32 v4, v9, v4, vcc_lo
	v_cndmask_b32_e32 v3, v5, v13, vcc_lo
.LBB0_4:                                ;   in Loop: Header=BB0_2 Depth=1
	s_wait_alu 0xfffe
	s_and_not1_saveexec_b32 s2, s26
	s_cbranch_execz .LBB0_6
; %bb.5:                                ;   in Loop: Header=BB0_2 Depth=1
	v_cvt_f32_u32_e32 v3, s24
	s_sub_co_i32 s26, 0, s24
	s_delay_alu instid0(VALU_DEP_1) | instskip(NEXT) | instid1(TRANS32_DEP_1)
	v_rcp_iflag_f32_e32 v3, v3
	v_mul_f32_e32 v3, 0x4f7ffffe, v3
	s_delay_alu instid0(VALU_DEP_1) | instskip(SKIP_1) | instid1(VALU_DEP_1)
	v_cvt_u32_f32_e32 v3, v3
	s_wait_alu 0xfffe
	v_mul_lo_u32 v4, s26, v3
	s_delay_alu instid0(VALU_DEP_1) | instskip(NEXT) | instid1(VALU_DEP_1)
	v_mul_hi_u32 v4, v3, v4
	v_add_nc_u32_e32 v3, v3, v4
	s_delay_alu instid0(VALU_DEP_1) | instskip(NEXT) | instid1(VALU_DEP_1)
	v_mul_hi_u32 v3, v10, v3
	v_mul_lo_u32 v4, v3, s24
	v_add_nc_u32_e32 v5, 1, v3
	s_delay_alu instid0(VALU_DEP_2) | instskip(NEXT) | instid1(VALU_DEP_1)
	v_sub_nc_u32_e32 v4, v10, v4
	v_subrev_nc_u32_e32 v9, s24, v4
	v_cmp_le_u32_e32 vcc_lo, s24, v4
	s_wait_alu 0xfffd
	s_delay_alu instid0(VALU_DEP_2) | instskip(SKIP_1) | instid1(VALU_DEP_2)
	v_cndmask_b32_e32 v4, v4, v9, vcc_lo
	v_cndmask_b32_e32 v3, v3, v5, vcc_lo
	v_cmp_le_u32_e32 vcc_lo, s24, v4
	s_delay_alu instid0(VALU_DEP_2) | instskip(SKIP_1) | instid1(VALU_DEP_1)
	v_dual_mov_b32 v4, v8 :: v_dual_add_nc_u32 v5, 1, v3
	s_wait_alu 0xfffd
	v_cndmask_b32_e32 v3, v3, v5, vcc_lo
.LBB0_6:                                ;   in Loop: Header=BB0_2 Depth=1
	s_wait_alu 0xfffe
	s_or_b32 exec_lo, exec_lo, s2
	v_mul_lo_u32 v5, v4, s24
	s_delay_alu instid0(VALU_DEP_2)
	v_mul_lo_u32 v9, v3, s25
	s_load_b64 s[26:27], s[18:19], 0x0
	v_mad_co_u64_u32 v[13:14], null, v3, s24, 0
	s_load_b64 s[24:25], s[16:17], 0x0
	s_add_nc_u64 s[20:21], s[20:21], 1
	s_add_nc_u64 s[16:17], s[16:17], 8
	s_wait_alu 0xfffe
	v_cmp_ge_u64_e64 s2, s[20:21], s[10:11]
	s_add_nc_u64 s[18:19], s[18:19], 8
	s_add_nc_u64 s[22:23], s[22:23], 8
	v_add3_u32 v5, v14, v9, v5
	v_sub_co_u32 v9, vcc_lo, v10, v13
	s_wait_alu 0xfffd
	s_delay_alu instid0(VALU_DEP_2) | instskip(SKIP_2) | instid1(VALU_DEP_1)
	v_sub_co_ci_u32_e32 v5, vcc_lo, v11, v5, vcc_lo
	s_and_b32 vcc_lo, exec_lo, s2
	s_wait_kmcnt 0x0
	v_mul_lo_u32 v10, s26, v5
	v_mul_lo_u32 v11, s27, v9
	v_mad_co_u64_u32 v[6:7], null, s26, v9, v[6:7]
	v_mul_lo_u32 v5, s24, v5
	v_mul_lo_u32 v13, s25, v9
	v_mad_co_u64_u32 v[1:2], null, s24, v9, v[1:2]
	s_delay_alu instid0(VALU_DEP_4) | instskip(NEXT) | instid1(VALU_DEP_2)
	v_add3_u32 v7, v11, v7, v10
	v_add3_u32 v2, v13, v2, v5
	s_wait_alu 0xfffe
	s_cbranch_vccnz .LBB0_9
; %bb.7:                                ;   in Loop: Header=BB0_2 Depth=1
	v_dual_mov_b32 v11, v4 :: v_dual_mov_b32 v10, v3
	s_branch .LBB0_2
.LBB0_8:
	v_dual_mov_b32 v1, v6 :: v_dual_mov_b32 v2, v7
	v_dual_mov_b32 v3, v10 :: v_dual_mov_b32 v4, v11
.LBB0_9:
	s_load_b64 s[0:1], s[0:1], 0x28
	v_and_b32_e32 v5, 15, v0
	s_lshl_b64 s[10:11], s[10:11], 3
	s_wait_alu 0xfffe
	s_add_nc_u64 s[2:3], s[14:15], s[10:11]
	s_wait_kmcnt 0x0
	v_cmp_gt_u64_e32 vcc_lo, s[0:1], v[3:4]
	v_cmp_le_u64_e64 s0, s[0:1], v[3:4]
	s_delay_alu instid0(VALU_DEP_1)
	s_and_saveexec_b32 s1, s0
	s_wait_alu 0xfffe
	s_xor_b32 s0, exec_lo, s1
; %bb.10:
	v_and_b32_e32 v5, 15, v0
                                        ; implicit-def: $vgpr6_vgpr7
; %bb.11:
	s_wait_alu 0xfffe
	s_or_saveexec_b32 s1, s0
	s_load_b64 s[2:3], s[2:3], 0x0
	v_mul_u32_u24_e32 v0, 0x61, v12
	s_delay_alu instid0(VALU_DEP_1)
	v_lshlrev_b32_e32 v8, 2, v0
	s_xor_b32 exec_lo, exec_lo, s1
	s_cbranch_execz .LBB0_15
; %bb.12:
	s_add_nc_u64 s[10:11], s[12:13], s[10:11]
	v_lshlrev_b64_e32 v[6:7], 2, v[6:7]
	s_load_b64 s[10:11], s[10:11], 0x0
	s_wait_kmcnt 0x0
	v_mul_lo_u32 v11, s11, v3
	v_mul_lo_u32 v12, s10, v4
	v_mad_co_u64_u32 v[9:10], null, s10, v3, 0
	s_delay_alu instid0(VALU_DEP_1) | instskip(SKIP_1) | instid1(VALU_DEP_2)
	v_add3_u32 v10, v10, v12, v11
	v_lshlrev_b32_e32 v11, 2, v5
	v_lshlrev_b64_e32 v[9:10], 2, v[9:10]
	s_delay_alu instid0(VALU_DEP_1) | instskip(SKIP_1) | instid1(VALU_DEP_2)
	v_add_co_u32 v9, s0, s4, v9
	s_wait_alu 0xf1ff
	v_add_co_ci_u32_e64 v10, s0, s5, v10, s0
	s_mov_b32 s4, exec_lo
	s_delay_alu instid0(VALU_DEP_2) | instskip(SKIP_1) | instid1(VALU_DEP_2)
	v_add_co_u32 v6, s0, v9, v6
	s_wait_alu 0xf1ff
	v_add_co_ci_u32_e64 v7, s0, v10, v7, s0
	s_delay_alu instid0(VALU_DEP_2) | instskip(SKIP_1) | instid1(VALU_DEP_2)
	v_add_co_u32 v9, s0, v6, v11
	s_wait_alu 0xf1ff
	v_add_co_ci_u32_e64 v10, s0, 0, v7, s0
	s_clause 0x5
	global_load_b32 v12, v[9:10], off
	global_load_b32 v13, v[9:10], off offset:64
	global_load_b32 v14, v[9:10], off offset:128
	;; [unrolled: 1-line block ×5, first 2 shown]
	v_add3_u32 v9, 0, v8, v11
	s_wait_loadcnt 0x4
	ds_store_2addr_b32 v9, v12, v13 offset1:16
	s_wait_loadcnt 0x2
	ds_store_2addr_b32 v9, v14, v15 offset0:32 offset1:48
	s_wait_loadcnt 0x0
	ds_store_2addr_b32 v9, v16, v10 offset0:64 offset1:80
	v_cmpx_eq_u32_e32 15, v5
	s_cbranch_execz .LBB0_14
; %bb.13:
	global_load_b32 v6, v[6:7], off offset:384
	v_mov_b32_e32 v5, 15
	s_wait_loadcnt 0x0
	ds_store_b32 v9, v6 offset:324
.LBB0_14:
	s_wait_alu 0xfffe
	s_or_b32 exec_lo, exec_lo, s4
.LBB0_15:
	s_delay_alu instid0(SALU_CYCLE_1)
	s_or_b32 exec_lo, exec_lo, s1
	v_lshl_add_u32 v0, v0, 2, 0
	v_lshlrev_b32_e32 v9, 2, v5
	global_wb scope:SCOPE_SE
	s_wait_dscnt 0x0
	s_wait_kmcnt 0x0
	s_barrier_signal -1
	s_barrier_wait -1
	global_inv scope:SCOPE_SE
	v_add_nc_u32_e32 v20, v0, v9
	v_sub_nc_u32_e32 v10, v0, v9
	s_mov_b32 s1, exec_lo
                                        ; implicit-def: $vgpr6_vgpr7
	ds_load_u16 v13, v20
	ds_load_u16 v14, v10 offset:384
	s_wait_dscnt 0x0
	v_add_f16_e32 v12, v14, v13
	v_sub_f16_e32 v11, v13, v14
	v_cmpx_ne_u32_e32 0, v5
	s_wait_alu 0xfffe
	s_xor_b32 s1, exec_lo, s1
	s_cbranch_execz .LBB0_17
; %bb.16:
	v_mov_b32_e32 v6, 0
	v_add_f16_e32 v15, v14, v13
	v_sub_f16_e32 v13, v13, v14
	s_delay_alu instid0(VALU_DEP_3) | instskip(NEXT) | instid1(VALU_DEP_1)
	v_lshlrev_b64_e32 v[11:12], 2, v[5:6]
	v_add_co_u32 v11, s0, s8, v11
	s_wait_alu 0xf1ff
	s_delay_alu instid0(VALU_DEP_2)
	v_add_co_ci_u32_e64 v12, s0, s9, v12, s0
	global_load_b32 v7, v[11:12], off offset:360
	ds_load_u16 v11, v10 offset:386
	ds_load_u16 v12, v20 offset:2
	s_wait_dscnt 0x0
	v_add_f16_e32 v14, v11, v12
	v_sub_f16_e32 v11, v12, v11
	s_wait_loadcnt 0x0
	v_lshrrev_b32_e32 v16, 16, v7
	s_delay_alu instid0(VALU_DEP_1) | instskip(NEXT) | instid1(VALU_DEP_3)
	v_fma_f16 v17, -v13, v16, v15
	v_fma_f16 v18, v14, v16, -v11
	v_fma_f16 v11, v14, v16, v11
	v_fma_f16 v12, v13, v16, v15
	s_delay_alu instid0(VALU_DEP_4) | instskip(NEXT) | instid1(VALU_DEP_4)
	v_fmac_f16_e32 v17, v7, v14
	v_fmac_f16_e32 v18, v13, v7
	s_delay_alu instid0(VALU_DEP_4) | instskip(NEXT) | instid1(VALU_DEP_4)
	v_fmac_f16_e32 v11, v13, v7
	v_fma_f16 v12, -v7, v14, v12
	v_mov_b32_e32 v7, v6
	v_mov_b32_e32 v6, v5
	v_pack_b32_f16 v13, v17, v18
	ds_store_b32 v10, v13 offset:384
.LBB0_17:
	s_wait_alu 0xfffe
	s_and_not1_saveexec_b32 s0, s1
	s_cbranch_execz .LBB0_19
; %bb.18:
	ds_load_b32 v6, v0 offset:192
	s_wait_dscnt 0x0
	v_pk_mul_f16 v13, 0xc0004000, v6
	v_mov_b32_e32 v6, 0
	v_mov_b32_e32 v7, 0
	ds_store_b32 v0, v13 offset:192
.LBB0_19:
	s_wait_alu 0xfffe
	s_or_b32 exec_lo, exec_lo, s0
	v_lshlrev_b64_e32 v[6:7], 2, v[6:7]
	s_add_nc_u64 s[0:1], s[8:9], 0x168
	v_add3_u32 v21, 0, v9, v8
                                        ; implicit-def: $vgpr23
                                        ; implicit-def: $vgpr33
                                        ; implicit-def: $vgpr26
                                        ; implicit-def: $vgpr35
                                        ; implicit-def: $vgpr32
                                        ; implicit-def: $vgpr25
                                        ; implicit-def: $vgpr18
                                        ; implicit-def: $vgpr29
                                        ; implicit-def: $vgpr36
                                        ; implicit-def: $vgpr34
                                        ; implicit-def: $vgpr38
                                        ; implicit-def: $vgpr37
	s_wait_alu 0xfffe
	s_delay_alu instid0(VALU_DEP_2)
	v_add_co_u32 v6, s0, s0, v6
	s_wait_alu 0xf1ff
	v_add_co_ci_u32_e64 v7, s0, s1, v7, s0
	v_cmp_gt_u32_e64 s0, 6, v5
	s_clause 0x1
	global_load_b32 v13, v[6:7], off offset:64
	global_load_b32 v6, v[6:7], off offset:128
	v_perm_b32 v7, v11, v12, 0x5040100
	ds_store_b32 v20, v7
	ds_load_b32 v7, v20 offset:64
	ds_load_b32 v11, v10 offset:320
	s_wait_dscnt 0x1
	v_lshrrev_b32_e32 v12, 16, v7
	s_wait_dscnt 0x0
	v_lshrrev_b32_e32 v14, 16, v11
	v_add_f16_e32 v15, v7, v11
	v_sub_f16_e32 v7, v7, v11
	s_delay_alu instid0(VALU_DEP_3) | instskip(SKIP_3) | instid1(VALU_DEP_1)
	v_add_f16_e32 v11, v14, v12
	v_sub_f16_e32 v12, v12, v14
	s_wait_loadcnt 0x1
	v_lshrrev_b32_e32 v16, 16, v13
	v_fma_f16 v14, v7, v16, v15
	s_delay_alu instid0(VALU_DEP_3) | instskip(SKIP_2) | instid1(VALU_DEP_4)
	v_fma_f16 v17, v11, v16, v12
	v_fma_f16 v15, -v7, v16, v15
	v_fma_f16 v12, v11, v16, -v12
	v_fma_f16 v14, -v13, v11, v14
	s_delay_alu instid0(VALU_DEP_4) | instskip(NEXT) | instid1(VALU_DEP_4)
	v_fmac_f16_e32 v17, v7, v13
	v_fmac_f16_e32 v15, v13, v11
	s_delay_alu instid0(VALU_DEP_4) | instskip(NEXT) | instid1(VALU_DEP_3)
	v_fmac_f16_e32 v12, v7, v13
	v_pack_b32_f16 v7, v14, v17
	s_wait_loadcnt 0x0
	v_lshrrev_b32_e32 v14, 16, v6
	s_delay_alu instid0(VALU_DEP_3)
	v_pack_b32_f16 v11, v15, v12
	ds_store_b32 v20, v7 offset:64
	ds_store_b32 v10, v11 offset:320
	ds_load_b32 v7, v20 offset:128
	ds_load_b32 v11, v10 offset:256
	s_wait_dscnt 0x1
	v_lshrrev_b32_e32 v12, 16, v7
	s_wait_dscnt 0x0
	v_lshrrev_b32_e32 v13, 16, v11
	v_add_f16_e32 v15, v7, v11
	v_sub_f16_e32 v7, v7, v11
	s_delay_alu instid0(VALU_DEP_3) | instskip(SKIP_1) | instid1(VALU_DEP_3)
	v_add_f16_e32 v11, v13, v12
	v_sub_f16_e32 v12, v12, v13
	v_fma_f16 v13, v7, v14, v15
	v_fma_f16 v15, -v7, v14, v15
	s_delay_alu instid0(VALU_DEP_3) | instskip(SKIP_1) | instid1(VALU_DEP_4)
	v_fma_f16 v16, v11, v14, v12
	v_fma_f16 v12, v11, v14, -v12
	v_fma_f16 v13, -v6, v11, v13
	s_delay_alu instid0(VALU_DEP_4) | instskip(NEXT) | instid1(VALU_DEP_4)
	v_fmac_f16_e32 v15, v6, v11
	v_fmac_f16_e32 v16, v7, v6
	s_delay_alu instid0(VALU_DEP_4) | instskip(NEXT) | instid1(VALU_DEP_2)
	v_fmac_f16_e32 v12, v7, v6
	v_pack_b32_f16 v6, v13, v16
	s_delay_alu instid0(VALU_DEP_2)
	v_pack_b32_f16 v7, v15, v12
	ds_store_b32 v20, v6 offset:128
	ds_store_b32 v10, v7 offset:256
	global_wb scope:SCOPE_SE
	s_wait_dscnt 0x0
	s_barrier_signal -1
	s_barrier_wait -1
	global_inv scope:SCOPE_SE
	global_wb scope:SCOPE_SE
	s_barrier_signal -1
	s_barrier_wait -1
	global_inv scope:SCOPE_SE
	ds_load_2addr_b32 v[6:7], v21 offset0:16 offset1:32
	ds_load_b32 v10, v20
	ds_load_2addr_b32 v[8:9], v21 offset0:48 offset1:64
	ds_load_b32 v11, v21 offset:320
	v_mad_u32_u24 v12, v5, 20, v21
	global_wb scope:SCOPE_SE
	s_wait_dscnt 0x0
	s_barrier_signal -1
	s_barrier_wait -1
	global_inv scope:SCOPE_SE
	v_pk_add_f16 v13, v10, v7
	v_pk_add_f16 v14, v6, v8
	;; [unrolled: 1-line block ×4, first 2 shown]
	v_pk_add_f16 v8, v8, v11 neg_lo:[0,1] neg_hi:[0,1]
	v_pk_add_f16 v7, v7, v9 neg_lo:[0,1] neg_hi:[0,1]
	v_pk_add_f16 v9, v13, v9
	v_pk_fma_f16 v6, v16, 0.5, v6 op_sel_hi:[1,0,1] neg_lo:[1,0,0] neg_hi:[1,0,0]
	v_pk_add_f16 v11, v14, v11
	v_pk_fma_f16 v10, v15, 0.5, v10 op_sel_hi:[1,0,1] neg_lo:[1,0,0] neg_hi:[1,0,0]
	s_delay_alu instid0(VALU_DEP_3) | instskip(SKIP_1) | instid1(VALU_DEP_4)
	v_pk_fma_f16 v13, 0x3aee, v8, v6 op_sel:[0,0,1] op_sel_hi:[0,1,0] neg_lo:[0,1,0] neg_hi:[0,1,0]
	v_pk_fma_f16 v8, 0x3aee, v8, v6 op_sel:[0,0,1] op_sel_hi:[0,1,0]
	v_pk_add_f16 v22, v9, v11
	s_delay_alu instid0(VALU_DEP_4)
	v_pk_fma_f16 v14, 0x3aee, v7, v10 op_sel:[0,0,1] op_sel_hi:[0,1,0] neg_lo:[0,1,0] neg_hi:[0,1,0]
	v_pk_fma_f16 v7, 0x3aee, v7, v10 op_sel:[0,0,1] op_sel_hi:[0,1,0]
	v_pk_add_f16 v6, v9, v11 neg_lo:[0,1] neg_hi:[0,1]
	v_pk_mul_f16 v9, 0x3aee, v13 op_sel_hi:[0,1]
	v_lshrrev_b32_e32 v10, 16, v13
	v_lshrrev_b32_e32 v11, 16, v8
	v_mul_f16_e32 v13, -0.5, v13
	v_mul_f16_e32 v15, 0x3aee, v8
	v_pk_fma_f16 v16, 0xb8003800, v8, v9 op_sel:[0,0,1] op_sel_hi:[1,1,0]
	v_pk_fma_f16 v8, 0xb8003800, v8, v9 op_sel:[0,0,1] op_sel_hi:[1,1,0] neg_lo:[0,0,1] neg_hi:[0,0,1]
	v_lshrrev_b32_e32 v9, 16, v14
	v_fmac_f16_e32 v13, 0x3aee, v11
	v_fma_f16 v10, v10, 0.5, -v15
	v_alignbit_b32 v11, v7, v14, 16
	v_bfi_b32 v15, 0xffff, v16, v8
	v_alignbit_b32 v17, v14, v7, 16
	v_add_f16_e32 v24, v14, v13
	v_pack_b32_f16 v14, v10, v16
	v_alignbit_b32 v8, v13, v8, 16
	v_pk_add_f16 v28, v7, v15
	v_add_f16_e32 v10, v9, v10
	v_lshrrev_b32_e32 v31, 16, v6
	v_pk_add_f16 v7, v11, v14 neg_lo:[0,1] neg_hi:[0,1]
	v_pk_add_f16 v16, v17, v8 neg_lo:[0,1] neg_hi:[0,1]
	v_alignbit_b32 v8, v24, v28, 16
	v_pack_b32_f16 v9, v10, v28
	v_lshrrev_b32_e32 v11, 16, v28
	v_lshrrev_b32_e32 v30, 16, v7
	v_lshrrev_b32_e32 v27, 16, v16
	ds_store_2addr_b32 v12, v22, v16 offset1:5
	ds_store_2addr_b32 v12, v9, v8 offset0:1 offset1:2
	ds_store_2addr_b32 v12, v6, v7 offset0:3 offset1:4
	global_wb scope:SCOPE_SE
	s_wait_dscnt 0x0
	s_barrier_signal -1
	s_barrier_wait -1
	global_inv scope:SCOPE_SE
                                        ; implicit-def: $vgpr15
                                        ; implicit-def: $vgpr8
                                        ; implicit-def: $vgpr12
	s_and_saveexec_b32 s1, s0
	s_cbranch_execz .LBB0_21
; %bb.20:
	ds_load_2addr_b32 v[14:15], v21 offset0:42 offset1:48
	ds_load_2addr_b32 v[8:9], v21 offset0:54 offset1:60
	ds_load_2addr_b32 v[12:13], v21 offset0:66 offset1:72
	ds_load_2addr_b32 v[18:19], v21 offset0:78 offset1:84
	ds_load_b32 v34, v21 offset:360
	ds_load_2addr_b32 v[10:11], v21 offset0:6 offset1:12
	ds_load_2addr_b32 v[6:7], v21 offset0:18 offset1:24
	;; [unrolled: 1-line block ×3, first 2 shown]
	ds_load_b32 v22, v20
	s_wait_dscnt 0x8
	v_lshrrev_b32_e32 v23, 16, v15
	s_wait_dscnt 0x7
	v_lshrrev_b32_e32 v33, 16, v8
	v_lshrrev_b32_e32 v26, 16, v9
	s_wait_dscnt 0x6
	v_lshrrev_b32_e32 v35, 16, v12
	;; [unrolled: 3-line block ×4, first 2 shown]
	s_wait_dscnt 0x3
	v_lshrrev_b32_e32 v28, 16, v10
	v_lshrrev_b32_e32 v24, 16, v11
	s_wait_dscnt 0x2
	v_lshrrev_b32_e32 v31, 16, v6
	v_lshrrev_b32_e32 v30, 16, v7
	;; [unrolled: 3-line block ×3, first 2 shown]
	v_lshrrev_b32_e32 v38, 16, v14
.LBB0_21:
	s_wait_alu 0xfffe
	s_or_b32 exec_lo, exec_lo, s1
	global_wb scope:SCOPE_SE
	s_wait_dscnt 0x0
	s_barrier_signal -1
	s_barrier_wait -1
	global_inv scope:SCOPE_SE
	s_and_saveexec_b32 s1, s0
	s_cbranch_execz .LBB0_23
; %bb.22:
	v_and_b32_e32 v39, 0xff, v5
	v_lshrrev_b32_e32 v54, 16, v22
	s_delay_alu instid0(VALU_DEP_2) | instskip(NEXT) | instid1(VALU_DEP_1)
	v_mul_lo_u16 v39, 0xab, v39
	v_lshrrev_b16 v39, 10, v39
	s_delay_alu instid0(VALU_DEP_1) | instskip(NEXT) | instid1(VALU_DEP_1)
	v_mul_lo_u16 v39, v39, 6
	v_sub_nc_u16 v39, v5, v39
	s_delay_alu instid0(VALU_DEP_1) | instskip(NEXT) | instid1(VALU_DEP_1)
	v_mul_lo_u16 v39, v39, 15
	v_and_b32_e32 v39, 0xff, v39
	s_delay_alu instid0(VALU_DEP_1)
	v_lshlrev_b32_e32 v51, 2, v39
	s_clause 0x3
	global_load_b128 v[39:42], v51, s[8:9]
	global_load_b128 v[43:46], v51, s[8:9] offset:16
	global_load_b128 v[47:50], v51, s[8:9] offset:32
	global_load_b96 v[51:53], v51, s[8:9] offset:48
	s_wait_loadcnt 0x3
	v_lshrrev_b32_e32 v55, 16, v39
	v_lshrrev_b32_e32 v56, 16, v40
	v_lshrrev_b32_e32 v57, 16, v41
	v_lshrrev_b32_e32 v58, 16, v42
	s_wait_loadcnt 0x2
	v_lshrrev_b32_e32 v59, 16, v43
	v_lshrrev_b32_e32 v60, 16, v44
	v_lshrrev_b32_e32 v61, 16, v45
	v_lshrrev_b32_e32 v62, 16, v46
	;; [unrolled: 5-line block ×3, first 2 shown]
	s_wait_loadcnt 0x0
	v_lshrrev_b32_e32 v67, 16, v51
	v_lshrrev_b32_e32 v68, 16, v52
	v_lshrrev_b32_e32 v69, 16, v53
	v_mul_f16_e32 v70, v10, v55
	v_mul_f16_e32 v71, v8, v63
	v_mul_f16_e32 v72, v27, v59
	v_mul_f16_e32 v73, v25, v67
	v_mul_f16_e32 v74, v6, v57
	v_mul_f16_e32 v75, v12, v65
	v_mul_f16_e32 v76, v38, v61
	v_mul_f16_e32 v77, v36, v69
	v_mul_f16_e32 v57, v31, v57
	v_mul_f16_e32 v65, v35, v65
	v_mul_f16_e32 v61, v14, v61
	v_mul_f16_e32 v69, v34, v69
	v_mul_f16_e32 v78, v23, v62
	v_mul_f16_e32 v79, v7, v58
	v_mul_f16_e32 v80, v13, v66
	v_mul_f16_e32 v81, v11, v56
	v_mul_f16_e32 v82, v9, v64
	v_mul_f16_e32 v83, v37, v60
	v_mul_f16_e32 v84, v29, v68
	v_mul_f16_e32 v56, v24, v56
	v_mul_f16_e32 v64, v26, v64
	v_mul_f16_e32 v60, v17, v60
	v_mul_f16_e32 v68, v19, v68
	v_mul_f16_e32 v55, v28, v55
	v_mul_f16_e32 v63, v33, v63
	v_mul_f16_e32 v59, v16, v59
	v_mul_f16_e32 v67, v18, v67
	v_mul_f16_e32 v62, v15, v62
	v_mul_f16_e32 v58, v30, v58
	v_mul_f16_e32 v66, v32, v66
	v_fma_f16 v28, v28, v39, -v70
	v_fma_f16 v33, v33, v47, -v71
	v_fmac_f16_e32 v72, v16, v43
	v_fmac_f16_e32 v73, v18, v51
	v_fma_f16 v16, v31, v41, -v74
	v_fma_f16 v18, v35, v49, -v75
	v_fmac_f16_e32 v76, v14, v45
	v_fmac_f16_e32 v77, v34, v53
	;; [unrolled: 1-line block ×4, first 2 shown]
	v_fma_f16 v6, v38, v45, -v61
	v_fma_f16 v12, v36, v53, -v69
	v_fmac_f16_e32 v78, v15, v46
	v_fma_f16 v14, v30, v42, -v79
	v_fma_f16 v15, v32, v50, -v80
	;; [unrolled: 1-line block ×4, first 2 shown]
	v_fmac_f16_e32 v83, v17, v44
	v_fmac_f16_e32 v84, v19, v52
	;; [unrolled: 1-line block ×4, first 2 shown]
	v_fma_f16 v9, v37, v44, -v60
	v_fma_f16 v11, v29, v52, -v68
	v_fmac_f16_e32 v55, v10, v39
	v_fmac_f16_e32 v63, v8, v47
	v_fma_f16 v8, v27, v43, -v59
	v_fma_f16 v10, v25, v51, -v67
	;; [unrolled: 1-line block ×3, first 2 shown]
	v_fmac_f16_e32 v58, v7, v42
	v_fmac_f16_e32 v66, v13, v50
	v_sub_f16_e32 v7, v28, v33
	v_sub_f16_e32 v13, v72, v73
	;; [unrolled: 1-line block ×18, first 2 shown]
	v_add_f16_e32 v34, v23, v12
	v_add_f16_e32 v35, v25, v15
	v_sub_f16_e32 v36, v26, v27
	v_add_f16_e32 v37, v29, v11
	v_add_f16_e32 v38, v30, v10
	v_sub_f16_e32 v39, v17, v31
	v_fma_f16 v28, v28, 2.0, -v7
	v_fma_f16 v8, v8, 2.0, -v10
	;; [unrolled: 1-line block ×16, first 2 shown]
	v_fmamk_f16 v40, v33, 0x39a8, v32
	v_fmamk_f16 v41, v37, 0x39a8, v35
	;; [unrolled: 1-line block ×4, first 2 shown]
	v_fma_f16 v7, v7, 2.0, -v32
	v_fma_f16 v18, v18, 2.0, -v33
	v_fma_f16 v23, v23, 2.0, -v34
	v_fma_f16 v26, v26, 2.0, -v36
	v_fma_f16 v25, v25, 2.0, -v35
	v_fma_f16 v29, v29, 2.0, -v37
	v_fma_f16 v30, v30, 2.0, -v38
	v_fma_f16 v17, v17, 2.0, -v39
	v_sub_f16_e32 v8, v28, v8
	v_sub_f16_e32 v19, v10, v19
	;; [unrolled: 1-line block ×8, first 2 shown]
	v_fmac_f16_e32 v40, 0xb9a8, v34
	v_fmac_f16_e32 v41, 0x39a8, v36
	;; [unrolled: 1-line block ×4, first 2 shown]
	v_fmamk_f16 v33, v18, 0xb9a8, v7
	v_fmamk_f16 v34, v29, 0xb9a8, v25
	;; [unrolled: 1-line block ×4, first 2 shown]
	v_sub_f16_e32 v44, v8, v19
	v_add_f16_e32 v45, v31, v9
	v_add_f16_e32 v46, v13, v6
	v_sub_f16_e32 v47, v14, v27
	v_fma_f16 v22, v22, 2.0, -v31
	v_fma_f16 v15, v15, 2.0, -v27
	;; [unrolled: 1-line block ×8, first 2 shown]
	v_fmac_f16_e32 v33, 0xb9a8, v23
	v_fmac_f16_e32 v34, 0x39a8, v26
	;; [unrolled: 1-line block ×4, first 2 shown]
	v_fmamk_f16 v18, v42, 0x3b64, v41
	v_fmamk_f16 v23, v40, 0x3b64, v43
	;; [unrolled: 1-line block ×3, first 2 shown]
	v_fma_f16 v8, v8, 2.0, -v44
	v_fma_f16 v31, v31, 2.0, -v45
	;; [unrolled: 1-line block ×4, first 2 shown]
	v_sub_f16_e32 v15, v22, v15
	v_sub_f16_e32 v6, v27, v6
	v_fma_f16 v16, v32, 2.0, -v40
	v_fma_f16 v19, v35, 2.0, -v41
	;; [unrolled: 1-line block ×4, first 2 shown]
	v_fmamk_f16 v29, v44, 0x39a8, v47
	v_sub_f16_e32 v9, v12, v9
	v_sub_f16_e32 v10, v11, v10
	v_fmac_f16_e32 v18, 0x361f, v40
	v_fmac_f16_e32 v23, 0xb61f, v42
	;; [unrolled: 1-line block ×3, first 2 shown]
	v_fmamk_f16 v40, v13, 0xb9a8, v31
	v_fmamk_f16 v42, v8, 0xb9a8, v14
	v_add_f16_e32 v44, v15, v6
	v_fma_f16 v25, v25, 2.0, -v34
	v_fma_f16 v7, v7, 2.0, -v33
	;; [unrolled: 1-line block ×4, first 2 shown]
	v_fmamk_f16 v32, v24, 0xb61f, v19
	v_fmamk_f16 v35, v16, 0xb61f, v28
	v_fmac_f16_e32 v29, 0xb9a8, v46
	v_sub_f16_e32 v46, v9, v10
	v_fma_f16 v22, v22, 2.0, -v15
	v_fma_f16 v10, v11, 2.0, -v10
	;; [unrolled: 1-line block ×4, first 2 shown]
	v_fmamk_f16 v38, v36, 0x361f, v34
	v_fmamk_f16 v39, v33, 0x361f, v37
	v_fmac_f16_e32 v40, 0x39a8, v8
	v_fmac_f16_e32 v42, 0xb9a8, v13
	v_fma_f16 v8, v15, 2.0, -v44
	v_fmamk_f16 v13, v30, 0xbb64, v25
	v_fmamk_f16 v15, v7, 0xbb64, v17
	v_fmac_f16_e32 v32, 0x3b64, v16
	v_fmac_f16_e32 v35, 0xbb64, v24
	v_sub_f16_e32 v10, v22, v10
	v_sub_f16_e32 v6, v11, v6
	v_fmac_f16_e32 v38, 0x3b64, v33
	v_fmac_f16_e32 v39, 0xbb64, v36
	v_fma_f16 v12, v41, 2.0, -v18
	v_fma_f16 v16, v43, 2.0, -v23
	;; [unrolled: 1-line block ×5, first 2 shown]
	v_fmac_f16_e32 v13, 0x361f, v7
	v_fmac_f16_e32 v15, 0xb61f, v30
	v_fma_f16 v19, v19, 2.0, -v32
	v_fma_f16 v28, v28, 2.0, -v35
	;; [unrolled: 1-line block ×6, first 2 shown]
	v_pack_b32_f16 v26, v26, v29
	v_pack_b32_f16 v18, v18, v23
	v_fma_f16 v23, v34, 2.0, -v38
	v_fma_f16 v29, v37, 2.0, -v39
	v_pack_b32_f16 v12, v12, v16
	v_pack_b32_f16 v6, v10, v6
	v_pack_b32_f16 v8, v8, v9
	v_pack_b32_f16 v9, v24, v27
	v_fma_f16 v24, v25, 2.0, -v13
	v_fma_f16 v17, v17, 2.0, -v15
	v_pack_b32_f16 v33, v44, v46
	v_pack_b32_f16 v16, v32, v35
	;; [unrolled: 1-line block ×8, first 2 shown]
	ds_store_2addr_b32 v21, v12, v6 offset0:42 offset1:48
	v_pack_b32_f16 v6, v13, v15
	v_pack_b32_f16 v12, v24, v17
	ds_store_2addr_b32 v21, v16, v33 offset0:66 offset1:72
	ds_store_2addr_b32 v21, v22, v26 offset0:78 offset1:84
	;; [unrolled: 1-line block ×6, first 2 shown]
	ds_store_b32 v20, v7
	ds_store_b32 v21, v18 offset:360
.LBB0_23:
	s_wait_alu 0xfffe
	s_or_b32 exec_lo, exec_lo, s1
	global_wb scope:SCOPE_SE
	s_wait_dscnt 0x0
	s_barrier_signal -1
	s_barrier_wait -1
	global_inv scope:SCOPE_SE
	s_and_saveexec_b32 s0, vcc_lo
	s_cbranch_execz .LBB0_25
; %bb.24:
	v_mul_lo_u32 v7, s3, v3
	v_mul_lo_u32 v8, s2, v4
	v_mad_co_u64_u32 v[3:4], null, s2, v3, 0
	v_mov_b32_e32 v6, 0
	v_lshl_add_u32 v18, v5, 2, v0
	v_lshlrev_b64_e32 v[0:1], 2, v[1:2]
	v_add_nc_u32_e32 v16, 64, v5
	v_add3_u32 v4, v4, v8, v7
	v_add_nc_u32_e32 v7, 32, v5
	v_lshlrev_b64_e32 v[14:15], 2, v[5:6]
	v_add_nc_u32_e32 v2, 16, v5
	v_dual_mov_b32 v8, v6 :: v_dual_add_nc_u32 v9, 48, v5
	v_lshlrev_b64_e32 v[10:11], 2, v[3:4]
	v_mov_b32_e32 v3, v6
	ds_load_2addr_b32 v[12:13], v18 offset1:16
	v_mov_b32_e32 v17, v6
	v_lshlrev_b64_e32 v[7:8], 2, v[7:8]
	v_add_nc_u32_e32 v5, 0x50, v5
	v_add_co_u32 v4, vcc_lo, s6, v10
	s_wait_alu 0xfffd
	v_add_co_ci_u32_e32 v11, vcc_lo, s7, v11, vcc_lo
	v_mov_b32_e32 v10, v6
	s_delay_alu instid0(VALU_DEP_3) | instskip(SKIP_1) | instid1(VALU_DEP_3)
	v_add_co_u32 v20, vcc_lo, v4, v0
	s_wait_alu 0xfffd
	v_add_co_ci_u32_e32 v11, vcc_lo, v11, v1, vcc_lo
	v_lshlrev_b64_e32 v[0:1], 2, v[2:3]
	s_delay_alu instid0(VALU_DEP_3) | instskip(SKIP_1) | instid1(VALU_DEP_3)
	v_add_co_u32 v2, vcc_lo, v20, v14
	s_wait_alu 0xfffd
	v_add_co_ci_u32_e32 v3, vcc_lo, v11, v15, vcc_lo
	ds_load_2addr_b32 v[14:15], v18 offset0:32 offset1:48
	ds_load_2addr_b32 v[18:19], v18 offset0:64 offset1:80
	v_add_co_u32 v0, vcc_lo, v20, v0
	v_lshlrev_b64_e32 v[9:10], 2, v[9:10]
	s_wait_alu 0xfffd
	v_add_co_ci_u32_e32 v1, vcc_lo, v11, v1, vcc_lo
	v_add_co_u32 v7, vcc_lo, v20, v7
	v_lshlrev_b64_e32 v[16:17], 2, v[16:17]
	s_wait_alu 0xfffd
	v_add_co_ci_u32_e32 v8, vcc_lo, v11, v8, vcc_lo
	;; [unrolled: 4-line block ×3, first 2 shown]
	v_add_co_u32 v16, vcc_lo, v20, v16
	s_wait_alu 0xfffd
	v_add_co_ci_u32_e32 v17, vcc_lo, v11, v17, vcc_lo
	v_add_co_u32 v4, vcc_lo, v20, v4
	s_wait_alu 0xfffd
	v_add_co_ci_u32_e32 v5, vcc_lo, v11, v5, vcc_lo
	s_wait_dscnt 0x2
	s_clause 0x1
	global_store_b32 v[2:3], v12, off
	global_store_b32 v[0:1], v13, off
	s_wait_dscnt 0x1
	s_clause 0x1
	global_store_b32 v[7:8], v14, off
	global_store_b32 v[9:10], v15, off
	;; [unrolled: 4-line block ×3, first 2 shown]
.LBB0_25:
	s_nop 0
	s_sendmsg sendmsg(MSG_DEALLOC_VGPRS)
	s_endpgm
	.section	.rodata,"a",@progbits
	.p2align	6, 0x0
	.amdhsa_kernel fft_rtc_back_len96_factors_6_16_wgs_128_tpt_16_half_op_CI_CI_unitstride_sbrr_C2R_dirReg
		.amdhsa_group_segment_fixed_size 0
		.amdhsa_private_segment_fixed_size 0
		.amdhsa_kernarg_size 104
		.amdhsa_user_sgpr_count 2
		.amdhsa_user_sgpr_dispatch_ptr 0
		.amdhsa_user_sgpr_queue_ptr 0
		.amdhsa_user_sgpr_kernarg_segment_ptr 1
		.amdhsa_user_sgpr_dispatch_id 0
		.amdhsa_user_sgpr_private_segment_size 0
		.amdhsa_wavefront_size32 1
		.amdhsa_uses_dynamic_stack 0
		.amdhsa_enable_private_segment 0
		.amdhsa_system_sgpr_workgroup_id_x 1
		.amdhsa_system_sgpr_workgroup_id_y 0
		.amdhsa_system_sgpr_workgroup_id_z 0
		.amdhsa_system_sgpr_workgroup_info 0
		.amdhsa_system_vgpr_workitem_id 0
		.amdhsa_next_free_vgpr 85
		.amdhsa_next_free_sgpr 39
		.amdhsa_reserve_vcc 1
		.amdhsa_float_round_mode_32 0
		.amdhsa_float_round_mode_16_64 0
		.amdhsa_float_denorm_mode_32 3
		.amdhsa_float_denorm_mode_16_64 3
		.amdhsa_fp16_overflow 0
		.amdhsa_workgroup_processor_mode 1
		.amdhsa_memory_ordered 1
		.amdhsa_forward_progress 0
		.amdhsa_round_robin_scheduling 0
		.amdhsa_exception_fp_ieee_invalid_op 0
		.amdhsa_exception_fp_denorm_src 0
		.amdhsa_exception_fp_ieee_div_zero 0
		.amdhsa_exception_fp_ieee_overflow 0
		.amdhsa_exception_fp_ieee_underflow 0
		.amdhsa_exception_fp_ieee_inexact 0
		.amdhsa_exception_int_div_zero 0
	.end_amdhsa_kernel
	.text
.Lfunc_end0:
	.size	fft_rtc_back_len96_factors_6_16_wgs_128_tpt_16_half_op_CI_CI_unitstride_sbrr_C2R_dirReg, .Lfunc_end0-fft_rtc_back_len96_factors_6_16_wgs_128_tpt_16_half_op_CI_CI_unitstride_sbrr_C2R_dirReg
                                        ; -- End function
	.section	.AMDGPU.csdata,"",@progbits
; Kernel info:
; codeLenInByte = 5332
; NumSgprs: 41
; NumVgprs: 85
; ScratchSize: 0
; MemoryBound: 0
; FloatMode: 240
; IeeeMode: 1
; LDSByteSize: 0 bytes/workgroup (compile time only)
; SGPRBlocks: 5
; VGPRBlocks: 10
; NumSGPRsForWavesPerEU: 41
; NumVGPRsForWavesPerEU: 85
; Occupancy: 16
; WaveLimiterHint : 1
; COMPUTE_PGM_RSRC2:SCRATCH_EN: 0
; COMPUTE_PGM_RSRC2:USER_SGPR: 2
; COMPUTE_PGM_RSRC2:TRAP_HANDLER: 0
; COMPUTE_PGM_RSRC2:TGID_X_EN: 1
; COMPUTE_PGM_RSRC2:TGID_Y_EN: 0
; COMPUTE_PGM_RSRC2:TGID_Z_EN: 0
; COMPUTE_PGM_RSRC2:TIDIG_COMP_CNT: 0
	.text
	.p2alignl 7, 3214868480
	.fill 96, 4, 3214868480
	.type	__hip_cuid_7f530f272a15cb6a,@object ; @__hip_cuid_7f530f272a15cb6a
	.section	.bss,"aw",@nobits
	.globl	__hip_cuid_7f530f272a15cb6a
__hip_cuid_7f530f272a15cb6a:
	.byte	0                               ; 0x0
	.size	__hip_cuid_7f530f272a15cb6a, 1

	.ident	"AMD clang version 19.0.0git (https://github.com/RadeonOpenCompute/llvm-project roc-6.4.0 25133 c7fe45cf4b819c5991fe208aaa96edf142730f1d)"
	.section	".note.GNU-stack","",@progbits
	.addrsig
	.addrsig_sym __hip_cuid_7f530f272a15cb6a
	.amdgpu_metadata
---
amdhsa.kernels:
  - .args:
      - .actual_access:  read_only
        .address_space:  global
        .offset:         0
        .size:           8
        .value_kind:     global_buffer
      - .offset:         8
        .size:           8
        .value_kind:     by_value
      - .actual_access:  read_only
        .address_space:  global
        .offset:         16
        .size:           8
        .value_kind:     global_buffer
      - .actual_access:  read_only
        .address_space:  global
        .offset:         24
        .size:           8
        .value_kind:     global_buffer
      - .actual_access:  read_only
        .address_space:  global
        .offset:         32
        .size:           8
        .value_kind:     global_buffer
      - .offset:         40
        .size:           8
        .value_kind:     by_value
      - .actual_access:  read_only
        .address_space:  global
        .offset:         48
        .size:           8
        .value_kind:     global_buffer
      - .actual_access:  read_only
        .address_space:  global
        .offset:         56
        .size:           8
        .value_kind:     global_buffer
      - .offset:         64
        .size:           4
        .value_kind:     by_value
      - .actual_access:  read_only
        .address_space:  global
        .offset:         72
        .size:           8
        .value_kind:     global_buffer
      - .actual_access:  read_only
        .address_space:  global
        .offset:         80
        .size:           8
        .value_kind:     global_buffer
      - .actual_access:  read_only
        .address_space:  global
        .offset:         88
        .size:           8
        .value_kind:     global_buffer
      - .actual_access:  write_only
        .address_space:  global
        .offset:         96
        .size:           8
        .value_kind:     global_buffer
    .group_segment_fixed_size: 0
    .kernarg_segment_align: 8
    .kernarg_segment_size: 104
    .language:       OpenCL C
    .language_version:
      - 2
      - 0
    .max_flat_workgroup_size: 128
    .name:           fft_rtc_back_len96_factors_6_16_wgs_128_tpt_16_half_op_CI_CI_unitstride_sbrr_C2R_dirReg
    .private_segment_fixed_size: 0
    .sgpr_count:     41
    .sgpr_spill_count: 0
    .symbol:         fft_rtc_back_len96_factors_6_16_wgs_128_tpt_16_half_op_CI_CI_unitstride_sbrr_C2R_dirReg.kd
    .uniform_work_group_size: 1
    .uses_dynamic_stack: false
    .vgpr_count:     85
    .vgpr_spill_count: 0
    .wavefront_size: 32
    .workgroup_processor_mode: 1
amdhsa.target:   amdgcn-amd-amdhsa--gfx1201
amdhsa.version:
  - 1
  - 2
...

	.end_amdgpu_metadata
